;; amdgpu-corpus repo=ROCm/rocFFT kind=compiled arch=gfx1030 opt=O3
	.text
	.amdgcn_target "amdgcn-amd-amdhsa--gfx1030"
	.amdhsa_code_object_version 6
	.protected	fft_rtc_back_len819_factors_9_7_13_wgs_117_tpt_117_dp_op_CI_CI_unitstride_sbrr_dirReg ; -- Begin function fft_rtc_back_len819_factors_9_7_13_wgs_117_tpt_117_dp_op_CI_CI_unitstride_sbrr_dirReg
	.globl	fft_rtc_back_len819_factors_9_7_13_wgs_117_tpt_117_dp_op_CI_CI_unitstride_sbrr_dirReg
	.p2align	8
	.type	fft_rtc_back_len819_factors_9_7_13_wgs_117_tpt_117_dp_op_CI_CI_unitstride_sbrr_dirReg,@function
fft_rtc_back_len819_factors_9_7_13_wgs_117_tpt_117_dp_op_CI_CI_unitstride_sbrr_dirReg: ; @fft_rtc_back_len819_factors_9_7_13_wgs_117_tpt_117_dp_op_CI_CI_unitstride_sbrr_dirReg
; %bb.0:
	s_clause 0x2
	s_load_dwordx4 s[12:15], s[4:5], 0x0
	s_load_dwordx4 s[8:11], s[4:5], 0x58
	;; [unrolled: 1-line block ×3, first 2 shown]
	v_mul_u32_u24_e32 v2, 0x231, v0
	v_mov_b32_e32 v1, 0
	v_mov_b32_e32 v4, 0
	;; [unrolled: 1-line block ×3, first 2 shown]
	v_add_nc_u32_sdwa v6, s6, v2 dst_sel:DWORD dst_unused:UNUSED_PAD src0_sel:DWORD src1_sel:WORD_1
	v_mov_b32_e32 v7, v1
	s_waitcnt lgkmcnt(0)
	v_cmp_lt_u64_e64 s0, s[14:15], 2
	s_and_b32 vcc_lo, exec_lo, s0
	s_cbranch_vccnz .LBB0_8
; %bb.1:
	s_load_dwordx2 s[0:1], s[4:5], 0x10
	v_mov_b32_e32 v4, 0
	v_mov_b32_e32 v5, 0
	s_add_u32 s2, s18, 8
	s_addc_u32 s3, s19, 0
	s_add_u32 s6, s16, 8
	s_addc_u32 s7, s17, 0
	v_mov_b32_e32 v53, v5
	v_mov_b32_e32 v52, v4
	s_mov_b64 s[22:23], 1
	s_waitcnt lgkmcnt(0)
	s_add_u32 s20, s0, 8
	s_addc_u32 s21, s1, 0
.LBB0_2:                                ; =>This Inner Loop Header: Depth=1
	s_load_dwordx2 s[24:25], s[20:21], 0x0
                                        ; implicit-def: $vgpr54_vgpr55
	s_mov_b32 s0, exec_lo
	s_waitcnt lgkmcnt(0)
	v_or_b32_e32 v2, s25, v7
	v_cmpx_ne_u64_e32 0, v[1:2]
	s_xor_b32 s1, exec_lo, s0
	s_cbranch_execz .LBB0_4
; %bb.3:                                ;   in Loop: Header=BB0_2 Depth=1
	v_cvt_f32_u32_e32 v2, s24
	v_cvt_f32_u32_e32 v3, s25
	s_sub_u32 s0, 0, s24
	s_subb_u32 s26, 0, s25
	v_fmac_f32_e32 v2, 0x4f800000, v3
	v_rcp_f32_e32 v2, v2
	v_mul_f32_e32 v2, 0x5f7ffffc, v2
	v_mul_f32_e32 v3, 0x2f800000, v2
	v_trunc_f32_e32 v3, v3
	v_fmac_f32_e32 v2, 0xcf800000, v3
	v_cvt_u32_f32_e32 v3, v3
	v_cvt_u32_f32_e32 v2, v2
	v_mul_lo_u32 v8, s0, v3
	v_mul_hi_u32 v9, s0, v2
	v_mul_lo_u32 v10, s26, v2
	v_add_nc_u32_e32 v8, v9, v8
	v_mul_lo_u32 v9, s0, v2
	v_add_nc_u32_e32 v8, v8, v10
	v_mul_hi_u32 v10, v2, v9
	v_mul_lo_u32 v11, v2, v8
	v_mul_hi_u32 v12, v2, v8
	v_mul_hi_u32 v13, v3, v9
	v_mul_lo_u32 v9, v3, v9
	v_mul_hi_u32 v14, v3, v8
	v_mul_lo_u32 v8, v3, v8
	v_add_co_u32 v10, vcc_lo, v10, v11
	v_add_co_ci_u32_e32 v11, vcc_lo, 0, v12, vcc_lo
	v_add_co_u32 v9, vcc_lo, v10, v9
	v_add_co_ci_u32_e32 v9, vcc_lo, v11, v13, vcc_lo
	v_add_co_ci_u32_e32 v10, vcc_lo, 0, v14, vcc_lo
	v_add_co_u32 v8, vcc_lo, v9, v8
	v_add_co_ci_u32_e32 v9, vcc_lo, 0, v10, vcc_lo
	v_add_co_u32 v2, vcc_lo, v2, v8
	v_add_co_ci_u32_e32 v3, vcc_lo, v3, v9, vcc_lo
	v_mul_hi_u32 v8, s0, v2
	v_mul_lo_u32 v10, s26, v2
	v_mul_lo_u32 v9, s0, v3
	v_add_nc_u32_e32 v8, v8, v9
	v_mul_lo_u32 v9, s0, v2
	v_add_nc_u32_e32 v8, v8, v10
	v_mul_hi_u32 v10, v2, v9
	v_mul_lo_u32 v11, v2, v8
	v_mul_hi_u32 v12, v2, v8
	v_mul_hi_u32 v13, v3, v9
	v_mul_lo_u32 v9, v3, v9
	v_mul_hi_u32 v14, v3, v8
	v_mul_lo_u32 v8, v3, v8
	v_add_co_u32 v10, vcc_lo, v10, v11
	v_add_co_ci_u32_e32 v11, vcc_lo, 0, v12, vcc_lo
	v_add_co_u32 v9, vcc_lo, v10, v9
	v_add_co_ci_u32_e32 v9, vcc_lo, v11, v13, vcc_lo
	v_add_co_ci_u32_e32 v10, vcc_lo, 0, v14, vcc_lo
	v_add_co_u32 v8, vcc_lo, v9, v8
	v_add_co_ci_u32_e32 v9, vcc_lo, 0, v10, vcc_lo
	v_add_co_u32 v8, vcc_lo, v2, v8
	v_add_co_ci_u32_e32 v10, vcc_lo, v3, v9, vcc_lo
	v_mul_hi_u32 v12, v6, v8
	v_mad_u64_u32 v[8:9], null, v7, v8, 0
	v_mad_u64_u32 v[2:3], null, v6, v10, 0
	;; [unrolled: 1-line block ×3, first 2 shown]
	v_add_co_u32 v2, vcc_lo, v12, v2
	v_add_co_ci_u32_e32 v3, vcc_lo, 0, v3, vcc_lo
	v_add_co_u32 v2, vcc_lo, v2, v8
	v_add_co_ci_u32_e32 v2, vcc_lo, v3, v9, vcc_lo
	v_add_co_ci_u32_e32 v3, vcc_lo, 0, v11, vcc_lo
	v_add_co_u32 v8, vcc_lo, v2, v10
	v_add_co_ci_u32_e32 v9, vcc_lo, 0, v3, vcc_lo
	v_mul_lo_u32 v10, s25, v8
	v_mad_u64_u32 v[2:3], null, s24, v8, 0
	v_mul_lo_u32 v11, s24, v9
	v_sub_co_u32 v2, vcc_lo, v6, v2
	v_add3_u32 v3, v3, v11, v10
	v_sub_nc_u32_e32 v10, v7, v3
	v_subrev_co_ci_u32_e64 v10, s0, s25, v10, vcc_lo
	v_add_co_u32 v11, s0, v8, 2
	v_add_co_ci_u32_e64 v12, s0, 0, v9, s0
	v_sub_co_u32 v13, s0, v2, s24
	v_sub_co_ci_u32_e32 v3, vcc_lo, v7, v3, vcc_lo
	v_subrev_co_ci_u32_e64 v10, s0, 0, v10, s0
	v_cmp_le_u32_e32 vcc_lo, s24, v13
	v_cmp_eq_u32_e64 s0, s25, v3
	v_cndmask_b32_e64 v13, 0, -1, vcc_lo
	v_cmp_le_u32_e32 vcc_lo, s25, v10
	v_cndmask_b32_e64 v14, 0, -1, vcc_lo
	v_cmp_le_u32_e32 vcc_lo, s24, v2
	;; [unrolled: 2-line block ×3, first 2 shown]
	v_cndmask_b32_e64 v15, 0, -1, vcc_lo
	v_cmp_eq_u32_e32 vcc_lo, s25, v10
	v_cndmask_b32_e64 v2, v15, v2, s0
	v_cndmask_b32_e32 v10, v14, v13, vcc_lo
	v_add_co_u32 v13, vcc_lo, v8, 1
	v_add_co_ci_u32_e32 v14, vcc_lo, 0, v9, vcc_lo
	v_cmp_ne_u32_e32 vcc_lo, 0, v10
	v_cndmask_b32_e32 v3, v14, v12, vcc_lo
	v_cndmask_b32_e32 v10, v13, v11, vcc_lo
	v_cmp_ne_u32_e32 vcc_lo, 0, v2
	v_cndmask_b32_e32 v55, v9, v3, vcc_lo
	v_cndmask_b32_e32 v54, v8, v10, vcc_lo
.LBB0_4:                                ;   in Loop: Header=BB0_2 Depth=1
	s_andn2_saveexec_b32 s0, s1
	s_cbranch_execz .LBB0_6
; %bb.5:                                ;   in Loop: Header=BB0_2 Depth=1
	v_cvt_f32_u32_e32 v2, s24
	s_sub_i32 s1, 0, s24
	v_mov_b32_e32 v55, v1
	v_rcp_iflag_f32_e32 v2, v2
	v_mul_f32_e32 v2, 0x4f7ffffe, v2
	v_cvt_u32_f32_e32 v2, v2
	v_mul_lo_u32 v3, s1, v2
	v_mul_hi_u32 v3, v2, v3
	v_add_nc_u32_e32 v2, v2, v3
	v_mul_hi_u32 v2, v6, v2
	v_mul_lo_u32 v3, v2, s24
	v_add_nc_u32_e32 v8, 1, v2
	v_sub_nc_u32_e32 v3, v6, v3
	v_subrev_nc_u32_e32 v9, s24, v3
	v_cmp_le_u32_e32 vcc_lo, s24, v3
	v_cndmask_b32_e32 v3, v3, v9, vcc_lo
	v_cndmask_b32_e32 v2, v2, v8, vcc_lo
	v_cmp_le_u32_e32 vcc_lo, s24, v3
	v_add_nc_u32_e32 v8, 1, v2
	v_cndmask_b32_e32 v54, v2, v8, vcc_lo
.LBB0_6:                                ;   in Loop: Header=BB0_2 Depth=1
	s_or_b32 exec_lo, exec_lo, s0
	v_mul_lo_u32 v8, v55, s24
	v_mul_lo_u32 v9, v54, s25
	s_load_dwordx2 s[0:1], s[6:7], 0x0
	v_mad_u64_u32 v[2:3], null, v54, s24, 0
	s_load_dwordx2 s[24:25], s[2:3], 0x0
	s_add_u32 s22, s22, 1
	s_addc_u32 s23, s23, 0
	s_add_u32 s2, s2, 8
	s_addc_u32 s3, s3, 0
	s_add_u32 s6, s6, 8
	v_add3_u32 v3, v3, v9, v8
	v_sub_co_u32 v2, vcc_lo, v6, v2
	s_addc_u32 s7, s7, 0
	s_add_u32 s20, s20, 8
	v_sub_co_ci_u32_e32 v3, vcc_lo, v7, v3, vcc_lo
	s_addc_u32 s21, s21, 0
	s_waitcnt lgkmcnt(0)
	v_mul_lo_u32 v6, s0, v3
	v_mul_lo_u32 v7, s1, v2
	v_mad_u64_u32 v[4:5], null, s0, v2, v[4:5]
	v_mul_lo_u32 v3, s24, v3
	v_mul_lo_u32 v8, s25, v2
	v_mad_u64_u32 v[52:53], null, s24, v2, v[52:53]
	v_cmp_ge_u64_e64 s0, s[22:23], s[14:15]
	v_add3_u32 v5, v7, v5, v6
	v_add3_u32 v53, v8, v53, v3
	s_and_b32 vcc_lo, exec_lo, s0
	s_cbranch_vccnz .LBB0_9
; %bb.7:                                ;   in Loop: Header=BB0_2 Depth=1
	v_mov_b32_e32 v6, v54
	v_mov_b32_e32 v7, v55
	s_branch .LBB0_2
.LBB0_8:
	v_mov_b32_e32 v53, v5
	v_mov_b32_e32 v55, v7
	;; [unrolled: 1-line block ×4, first 2 shown]
.LBB0_9:
	s_load_dwordx2 s[0:1], s[4:5], 0x28
	v_mul_hi_u32 v1, 0x2302303, v0
	s_lshl_b64 s[4:5], s[14:15], 3
                                        ; implicit-def: $vgpr34_vgpr35
                                        ; implicit-def: $vgpr26_vgpr27
                                        ; implicit-def: $vgpr2_vgpr3
                                        ; implicit-def: $vgpr14_vgpr15
                                        ; implicit-def: $vgpr18_vgpr19
                                        ; implicit-def: $vgpr6_vgpr7
                                        ; implicit-def: $vgpr30_vgpr31
                                        ; implicit-def: $vgpr22_vgpr23
                                        ; implicit-def: $vgpr10_vgpr11
	s_add_u32 s2, s18, s4
	s_addc_u32 s3, s19, s5
	v_mul_u32_u24_e32 v1, 0x75, v1
	v_sub_nc_u32_e32 v56, v0, v1
	s_waitcnt lgkmcnt(0)
	v_cmp_gt_u64_e32 vcc_lo, s[0:1], v[54:55]
	v_cmp_gt_u32_e64 s0, 0x5b, v56
	s_and_b32 s1, vcc_lo, s0
	s_and_saveexec_b32 s6, s1
	s_cbranch_execz .LBB0_11
; %bb.10:
	s_add_u32 s4, s16, s4
	s_addc_u32 s5, s17, s5
	v_mov_b32_e32 v57, 0
	s_load_dwordx2 s[4:5], s[4:5], 0x0
	s_waitcnt lgkmcnt(0)
	v_mul_lo_u32 v2, s5, v54
	v_mul_lo_u32 v3, s4, v55
	v_mad_u64_u32 v[0:1], null, s4, v54, 0
	v_add3_u32 v1, v1, v3, v2
	v_lshlrev_b64 v[2:3], 4, v[4:5]
	v_lshlrev_b64 v[0:1], 4, v[0:1]
	v_add_co_u32 v4, s1, s8, v0
	v_add_co_ci_u32_e64 v5, s1, s9, v1, s1
	v_lshlrev_b64 v[0:1], 4, v[56:57]
	v_add_co_u32 v2, s1, v4, v2
	v_add_co_ci_u32_e64 v3, s1, v5, v3, s1
	v_add_co_u32 v0, s1, v2, v0
	v_add_co_ci_u32_e64 v1, s1, v3, v1, s1
	s_clause 0x1
	global_load_dwordx4 v[8:11], v[0:1], off
	global_load_dwordx4 v[20:23], v[0:1], off offset:1456
	v_add_co_u32 v2, s1, 0x800, v0
	v_add_co_ci_u32_e64 v3, s1, 0, v1, s1
	v_add_co_u32 v12, s1, 0x1000, v0
	v_add_co_ci_u32_e64 v13, s1, 0, v1, s1
	;; [unrolled: 2-line block ×5, first 2 shown]
	s_clause 0x6
	global_load_dwordx4 v[28:31], v[2:3], off offset:864
	global_load_dwordx4 v[4:7], v[12:13], off offset:272
	;; [unrolled: 1-line block ×7, first 2 shown]
.LBB0_11:
	s_or_b32 exec_lo, exec_lo, s6
	s_waitcnt vmcnt(0)
	v_add_f64 v[38:39], v[20:21], -v[32:33]
	v_add_f64 v[36:37], v[22:23], -v[34:35]
	v_add_f64 v[32:33], v[32:33], v[20:21]
	v_add_f64 v[34:35], v[34:35], v[22:23]
	v_add_f64 v[46:47], v[16:17], -v[12:13]
	v_add_f64 v[44:45], v[18:19], -v[14:15]
	v_add_f64 v[40:41], v[12:13], v[16:17]
	v_add_f64 v[42:43], v[14:15], v[18:19]
	s_mov_b32 s18, 0xa2cf5039
	s_mov_b32 s5, 0x3fe491b7
	;; [unrolled: 1-line block ×4, first 2 shown]
	v_add_f64 v[48:49], v[24:25], v[28:29]
	v_add_f64 v[50:51], v[26:27], v[30:31]
	v_add_f64 v[28:29], v[28:29], -v[24:25]
	v_add_f64 v[30:31], v[30:31], -v[26:27]
	s_mov_b32 s22, 0x8c811c17
	s_mov_b32 s20, 0x7e0b738b
	s_mov_b32 s23, 0x3fef838b
	s_mov_b32 s21, 0x3fc63a1a
	v_add_f64 v[57:58], v[0:1], v[4:5]
	v_add_f64 v[59:60], v[2:3], v[6:7]
	v_mul_f64 v[20:21], v[38:39], s[4:5]
	v_mul_f64 v[22:23], v[36:37], s[4:5]
	v_fma_f64 v[24:25], v[32:33], s[18:19], v[8:9]
	v_fma_f64 v[26:27], v[34:35], s[18:19], v[10:11]
	v_mul_f64 v[65:66], v[46:47], s[4:5]
	v_mul_f64 v[67:68], v[44:45], s[4:5]
	v_fma_f64 v[69:70], v[40:41], s[18:19], v[8:9]
	v_fma_f64 v[71:72], v[42:43], s[18:19], v[10:11]
	v_add_f64 v[61:62], v[4:5], -v[0:1]
	v_add_f64 v[63:64], v[6:7], -v[2:3]
	s_mov_b32 s6, 0xe8584cab
	s_mov_b32 s7, 0x3febb67a
	;; [unrolled: 1-line block ×8, first 2 shown]
	v_fma_f64 v[0:1], v[28:29], s[22:23], v[20:21]
	v_fma_f64 v[2:3], v[30:31], s[22:23], v[22:23]
	;; [unrolled: 1-line block ×4, first 2 shown]
	v_fma_f64 v[20:21], v[38:39], s[22:23], -v[65:66]
	v_fma_f64 v[22:23], v[36:37], s[22:23], -v[67:68]
	v_fma_f64 v[24:25], v[32:33], s[20:21], v[69:70]
	v_fma_f64 v[26:27], v[34:35], s[20:21], v[71:72]
	;; [unrolled: 1-line block ×4, first 2 shown]
	v_fma_f64 v[4:5], v[57:58], -0.5, v[4:5]
	v_fma_f64 v[6:7], v[59:60], -0.5, v[6:7]
	v_fma_f64 v[20:21], v[61:62], s[8:9], v[20:21]
	v_fma_f64 v[22:23], v[63:64], s[8:9], v[22:23]
	v_fma_f64 v[24:25], v[57:58], -0.5, v[24:25]
	v_fma_f64 v[26:27], v[59:60], -0.5, v[26:27]
	v_fma_f64 v[0:1], v[46:47], s[14:15], v[0:1]
	v_fma_f64 v[2:3], v[44:45], s[14:15], v[2:3]
	;; [unrolled: 1-line block ×8, first 2 shown]
	v_add_f64 v[24:25], v[4:5], -v[2:3]
	v_add_f64 v[26:27], v[0:1], v[6:7]
	v_add_f64 v[20:21], v[20:21], -v[67:68]
	v_add_f64 v[22:23], v[65:66], v[22:23]
	v_fma_f64 v[4:5], v[2:3], 2.0, v[24:25]
	v_fma_f64 v[6:7], v[0:1], -2.0, v[26:27]
	v_fma_f64 v[0:1], v[67:68], 2.0, v[20:21]
	v_fma_f64 v[2:3], v[65:66], -2.0, v[22:23]
	s_and_saveexec_b32 s1, s0
	s_cbranch_execz .LBB0_13
; %bb.12:
	v_mul_f64 v[65:66], v[46:47], s[22:23]
	v_fma_f64 v[67:68], v[50:51], s[18:19], v[10:11]
	v_mul_f64 v[69:70], v[44:45], s[22:23]
	v_fma_f64 v[71:72], v[48:49], s[18:19], v[8:9]
	v_add_f64 v[50:51], v[50:51], v[34:35]
	v_add_f64 v[48:49], v[48:49], v[32:33]
	s_mov_b32 s5, 0xbfe491b7
	v_mul_f64 v[61:62], v[61:62], s[6:7]
	v_mul_f64 v[63:64], v[63:64], s[6:7]
	v_mul_f64 v[73:74], v[57:58], 0.5
	v_mul_f64 v[75:76], v[59:60], 0.5
	v_add_f64 v[77:78], v[59:60], v[10:11]
	v_add_f64 v[79:80], v[57:58], v[8:9]
	;; [unrolled: 1-line block ×4, first 2 shown]
	v_fma_f64 v[65:66], v[28:29], s[4:5], -v[65:66]
	v_fma_f64 v[67:68], v[42:43], s[20:21], v[67:68]
	v_fma_f64 v[69:70], v[30:31], s[4:5], -v[69:70]
	v_fma_f64 v[71:72], v[40:41], s[20:21], v[71:72]
	v_add_f64 v[59:60], v[59:60], v[50:51]
	v_add_f64 v[57:58], v[57:58], v[48:49]
	;; [unrolled: 1-line block ×4, first 2 shown]
	v_add_f64 v[28:29], v[46:47], -v[28:29]
	v_add_f64 v[30:31], v[44:45], -v[30:31]
	v_add_f64 v[48:49], v[61:62], v[65:66]
	v_add_f64 v[50:51], v[67:68], -v[75:76]
	v_add_f64 v[61:62], v[63:64], v[69:70]
	;; [unrolled: 2-line block ×3, first 2 shown]
	v_add_f64 v[16:17], v[16:17], v[57:58]
	v_fma_f64 v[42:43], v[42:43], -0.5, v[77:78]
	v_fma_f64 v[40:41], v[40:41], -0.5, v[79:80]
	v_mul_f64 v[44:45], v[28:29], s[6:7]
	v_mul_f64 v[46:47], v[30:31], s[6:7]
	v_fma_f64 v[38:39], v[38:39], s[14:15], v[48:49]
	v_fma_f64 v[34:35], v[34:35], s[16:17], v[50:51]
	;; [unrolled: 1-line block ×4, first 2 shown]
	v_add_f64 v[48:49], v[14:15], v[18:19]
	v_add_f64 v[50:51], v[12:13], v[16:17]
	v_fma_f64 v[14:15], v[28:29], s[6:7], v[42:43]
	v_fma_f64 v[12:13], v[30:31], s[8:9], v[40:41]
	v_add_f64 v[18:19], v[38:39], v[34:35]
	v_add_f64 v[16:17], v[32:33], -v[36:37]
	v_add_f64 v[10:11], v[10:11], v[48:49]
	v_add_f64 v[8:9], v[8:9], v[50:51]
	v_fma_f64 v[30:31], v[44:45], -2.0, v[14:15]
	v_fma_f64 v[28:29], v[46:47], 2.0, v[12:13]
	v_fma_f64 v[34:35], v[38:39], -2.0, v[18:19]
	v_fma_f64 v[32:33], v[36:37], 2.0, v[16:17]
	v_mad_u32_u24 v36, 0x90, v56, 0
	ds_write_b128 v36, v[24:27] offset:16
	ds_write_b128 v36, v[20:23] offset:32
	;; [unrolled: 1-line block ×4, first 2 shown]
	ds_write_b128 v36, v[8:11]
	ds_write_b128 v36, v[16:19] offset:64
	ds_write_b128 v36, v[28:31] offset:96
	;; [unrolled: 1-line block ×4, first 2 shown]
.LBB0_13:
	s_or_b32 exec_lo, exec_lo, s1
	v_and_b32_e32 v8, 0xff, v56
	v_mov_b32_e32 v9, 6
	s_load_dwordx2 s[2:3], s[2:3], 0x0
	s_waitcnt lgkmcnt(0)
	s_barrier
	v_mul_lo_u16 v8, v8, 57
	buffer_gl0_inv
	s_mov_b32 s0, 0x37e14327
	s_mov_b32 s1, 0x3fe948f6
	;; [unrolled: 1-line block ×3, first 2 shown]
	v_lshrrev_b16 v51, 9, v8
	s_mov_b32 s6, 0xe976ee23
	s_mov_b32 s5, 0x3fac98ee
	;; [unrolled: 1-line block ×4, first 2 shown]
	v_mul_lo_u16 v8, v51, 9
	s_mov_b32 s8, 0x5476071b
	s_mov_b32 s15, 0xbfd5d0dc
	;; [unrolled: 1-line block ×3, first 2 shown]
	v_sub_nc_u16 v75, v56, v8
	v_mul_u32_u24_sdwa v8, v75, v9 dst_sel:DWORD dst_unused:UNUSED_PAD src0_sel:BYTE_0 src1_sel:DWORD
	v_lshlrev_b32_e32 v24, 4, v8
	s_clause 0x5
	global_load_dwordx4 v[8:11], v24, s[12:13]
	global_load_dwordx4 v[12:15], v24, s[12:13] offset:16
	global_load_dwordx4 v[16:19], v24, s[12:13] offset:80
	;; [unrolled: 1-line block ×5, first 2 shown]
	v_lshl_add_u32 v24, v56, 4, 0
	ds_read_b128 v[33:36], v24 offset:1872
	ds_read_b128 v[37:40], v24 offset:3744
	;; [unrolled: 1-line block ×6, first 2 shown]
	s_waitcnt vmcnt(5) lgkmcnt(5)
	v_mul_f64 v[49:50], v[35:36], v[10:11]
	v_mul_f64 v[10:11], v[33:34], v[10:11]
	s_waitcnt vmcnt(4) lgkmcnt(4)
	v_mul_f64 v[65:66], v[39:40], v[14:15]
	v_mul_f64 v[14:15], v[37:38], v[14:15]
	s_waitcnt vmcnt(3) lgkmcnt(3)
	v_mul_f64 v[67:68], v[43:44], v[18:19]
	v_mul_f64 v[18:19], v[41:42], v[18:19]
	s_waitcnt vmcnt(2) lgkmcnt(2)
	v_mul_f64 v[69:70], v[47:48], v[22:23]
	v_mul_f64 v[22:23], v[45:46], v[22:23]
	s_waitcnt vmcnt(1) lgkmcnt(1)
	v_mul_f64 v[71:72], v[59:60], v[27:28]
	v_mul_f64 v[27:28], v[57:58], v[27:28]
	s_waitcnt vmcnt(0) lgkmcnt(0)
	v_mul_f64 v[73:74], v[63:64], v[31:32]
	v_mul_f64 v[31:32], v[61:62], v[31:32]
	v_fma_f64 v[33:34], v[33:34], v[8:9], v[49:50]
	v_fma_f64 v[8:9], v[35:36], v[8:9], -v[10:11]
	v_fma_f64 v[10:11], v[37:38], v[12:13], v[65:66]
	v_fma_f64 v[12:13], v[39:40], v[12:13], -v[14:15]
	;; [unrolled: 2-line block ×6, first 2 shown]
	v_add_f64 v[31:32], v[33:34], v[14:15]
	v_add_f64 v[35:36], v[8:9], v[16:17]
	;; [unrolled: 1-line block ×4, first 2 shown]
	v_add_f64 v[18:19], v[10:11], -v[18:19]
	v_add_f64 v[12:13], v[12:13], -v[20:21]
	v_add_f64 v[41:42], v[22:23], v[27:28]
	v_add_f64 v[43:44], v[25:26], v[29:30]
	v_add_f64 v[20:21], v[27:28], -v[22:23]
	v_add_f64 v[22:23], v[29:30], -v[25:26]
	;; [unrolled: 1-line block ×4, first 2 shown]
	ds_read_b128 v[8:11], v24
	s_waitcnt lgkmcnt(0)
	s_barrier
	buffer_gl0_inv
	v_add_f64 v[25:26], v[37:38], v[31:32]
	v_add_f64 v[27:28], v[39:40], v[35:36]
	v_add_f64 v[29:30], v[31:32], -v[41:42]
	v_add_f64 v[33:34], v[35:36], -v[43:44]
	;; [unrolled: 1-line block ×10, first 2 shown]
	v_add_f64 v[18:19], v[20:21], v[18:19]
	v_add_f64 v[12:13], v[22:23], v[12:13]
	v_add_f64 v[20:21], v[14:15], -v[20:21]
	v_add_f64 v[22:23], v[16:17], -v[22:23]
	v_add_f64 v[25:26], v[41:42], v[25:26]
	v_add_f64 v[27:28], v[43:44], v[27:28]
	v_mul_f64 v[29:30], v[29:30], s[0:1]
	v_mul_f64 v[33:34], v[33:34], s[0:1]
	s_mov_b32 s0, 0x429ad128
	v_mul_f64 v[37:38], v[45:46], s[4:5]
	v_mul_f64 v[39:40], v[47:48], s[4:5]
	;; [unrolled: 1-line block ×4, first 2 shown]
	s_mov_b32 s1, 0xbfebfeb5
	s_mov_b32 s6, 0xaaaaaaaa
	v_mul_f64 v[49:50], v[59:60], s[0:1]
	v_mul_f64 v[57:58], v[61:62], s[0:1]
	s_mov_b32 s7, 0xbff2aaaa
	v_add_f64 v[14:15], v[18:19], v[14:15]
	v_add_f64 v[12:13], v[12:13], v[16:17]
	;; [unrolled: 1-line block ×4, first 2 shown]
	v_fma_f64 v[16:17], v[45:46], s[4:5], v[29:30]
	v_fma_f64 v[18:19], v[47:48], s[4:5], v[33:34]
	v_fma_f64 v[37:38], v[31:32], s[8:9], -v[37:38]
	v_fma_f64 v[39:40], v[35:36], s[8:9], -v[39:40]
	s_mov_b32 s9, 0xbfe77f67
	v_fma_f64 v[45:46], v[20:21], s[14:15], v[41:42]
	v_fma_f64 v[47:48], v[22:23], s[14:15], v[43:44]
	s_mov_b32 s15, 0x3fd5d0dc
	v_fma_f64 v[41:42], v[59:60], s[0:1], -v[41:42]
	v_fma_f64 v[43:44], v[61:62], s[0:1], -v[43:44]
	;; [unrolled: 1-line block ×6, first 2 shown]
	s_mov_b32 s0, 0x37c3f68c
	s_mov_b32 s1, 0xbfdc38aa
	v_fma_f64 v[25:26], v[25:26], s[6:7], v[8:9]
	v_fma_f64 v[27:28], v[27:28], s[6:7], v[10:11]
	;; [unrolled: 1-line block ×8, first 2 shown]
	v_cmp_gt_u32_e64 s0, 63, v56
	v_add_f64 v[16:17], v[16:17], v[25:26]
	v_add_f64 v[18:19], v[18:19], v[27:28]
	;; [unrolled: 1-line block ×6, first 2 shown]
	v_mov_b32_e32 v27, 0x3f0
	v_add_f64 v[12:13], v[47:48], v[16:17]
	v_add_f64 v[14:15], v[18:19], -v[45:46]
	v_add_f64 v[20:21], v[49:50], v[57:58]
	v_add_f64 v[22:23], v[59:60], -v[43:44]
	v_add_f64 v[28:29], v[25:26], -v[41:42]
	v_add_f64 v[30:31], v[34:35], v[36:37]
	v_add_f64 v[32:33], v[41:42], v[25:26]
	v_add_f64 v[34:35], v[36:37], -v[34:35]
	v_add_f64 v[36:37], v[57:58], -v[49:50]
	v_add_f64 v[38:39], v[43:44], v[59:60]
	v_add_f64 v[16:17], v[16:17], -v[47:48]
	v_add_f64 v[18:19], v[45:46], v[18:19]
	v_mov_b32_e32 v25, 4
	v_mul_u32_u24_sdwa v26, v51, v27 dst_sel:DWORD dst_unused:UNUSED_PAD src0_sel:WORD_0 src1_sel:DWORD
                                        ; implicit-def: $vgpr42_vgpr43
                                        ; implicit-def: $vgpr46_vgpr47
                                        ; implicit-def: $vgpr50_vgpr51
	v_lshlrev_b32_sdwa v25, v25, v75 dst_sel:DWORD dst_unused:UNUSED_PAD src0_sel:DWORD src1_sel:BYTE_0
	v_add3_u32 v25, 0, v26, v25
	ds_write_b128 v25, v[8:11]
	ds_write_b128 v25, v[12:15] offset:144
	ds_write_b128 v25, v[20:23] offset:288
	;; [unrolled: 1-line block ×6, first 2 shown]
	s_waitcnt lgkmcnt(0)
	s_barrier
	buffer_gl0_inv
                                        ; implicit-def: $vgpr26_vgpr27
	s_and_saveexec_b32 s1, s0
	s_cbranch_execnz .LBB0_16
; %bb.14:
	s_or_b32 exec_lo, exec_lo, s1
	s_and_b32 s0, vcc_lo, s0
	s_and_saveexec_b32 s1, s0
	s_cbranch_execnz .LBB0_17
.LBB0_15:
	s_endpgm
.LBB0_16:
	ds_read_b128 v[8:11], v24
	ds_read_b128 v[12:15], v24 offset:1008
	ds_read_b128 v[20:23], v24 offset:2016
	;; [unrolled: 1-line block ×12, first 2 shown]
	s_or_b32 exec_lo, exec_lo, s1
	s_and_b32 s0, vcc_lo, s0
	s_and_saveexec_b32 s1, s0
	s_cbranch_execz .LBB0_15
.LBB0_17:
	v_mul_u32_u24_e32 v57, 12, v56
	s_mov_b32 s31, 0x3fddbe06
	s_mov_b32 s30, 0x4267c47c
	;; [unrolled: 1-line block ×4, first 2 shown]
	v_lshlrev_b32_e32 v82, 4, v57
	s_mov_b32 s28, 0x42a4c3d2
	s_mov_b32 s14, 0x24c2f84
	s_mov_b32 s16, 0x4bc48dbf
	s_mov_b32 s27, 0x3fefc445
	s_clause 0x1
	global_load_dwordx4 v[60:63], v82, s[12:13] offset:928
	global_load_dwordx4 v[66:69], v82, s[12:13] offset:944
	s_mov_b32 s19, 0xbfedeba7
	s_mov_b32 s29, 0x3fea55e2
	;; [unrolled: 1-line block ×20, first 2 shown]
	v_mul_lo_u32 v55, s2, v55
	s_waitcnt vmcnt(1) lgkmcnt(7)
	v_mul_f64 v[57:58], v[38:39], v[62:63]
	v_fma_f64 v[58:59], v[36:37], v[60:61], v[57:58]
	v_mul_f64 v[36:37], v[36:37], v[62:63]
	v_mul_lo_u32 v57, s3, v54
	v_fma_f64 v[38:39], v[38:39], v[60:61], -v[36:37]
	s_clause 0x1
	global_load_dwordx4 v[60:63], v82, s[12:13] offset:976
	global_load_dwordx4 v[70:73], v82, s[12:13] offset:960
	s_waitcnt vmcnt(1) lgkmcnt(4)
	v_mul_f64 v[36:37], v[6:7], v[62:63]
	v_fma_f64 v[36:37], v[4:5], v[60:61], v[36:37]
	v_mul_f64 v[4:5], v[4:5], v[62:63]
	v_fma_f64 v[60:61], v[6:7], v[60:61], -v[4:5]
	s_clause 0x1
	global_load_dwordx4 v[4:7], v82, s[12:13] offset:912
	global_load_dwordx4 v[74:77], v82, s[12:13] offset:896
	s_waitcnt vmcnt(1)
	v_mul_f64 v[62:63], v[34:35], v[6:7]
	v_mul_f64 v[6:7], v[32:33], v[6:7]
	v_fma_f64 v[62:63], v[32:33], v[4:5], v[62:63]
	v_fma_f64 v[64:65], v[34:35], v[4:5], -v[6:7]
	s_clause 0x1
	global_load_dwordx4 v[4:7], v82, s[12:13] offset:992
	global_load_dwordx4 v[78:81], v82, s[12:13] offset:1008
	s_waitcnt vmcnt(1) lgkmcnt(3)
	v_mul_f64 v[32:33], v[50:51], v[6:7]
	v_mul_f64 v[6:7], v[48:49], v[6:7]
	v_fma_f64 v[32:33], v[48:49], v[4:5], v[32:33]
	v_fma_f64 v[34:35], v[50:51], v[4:5], -v[6:7]
	v_mul_f64 v[4:5], v[30:31], v[76:77]
	v_fma_f64 v[48:49], v[28:29], v[74:75], v[4:5]
	v_mul_f64 v[4:5], v[28:29], v[76:77]
	v_fma_f64 v[50:51], v[30:31], v[74:75], -v[4:5]
	s_waitcnt vmcnt(0) lgkmcnt(2)
	v_mul_f64 v[4:5], v[46:47], v[80:81]
	v_fma_f64 v[28:29], v[44:45], v[78:79], v[4:5]
	v_mul_f64 v[4:5], v[44:45], v[80:81]
	v_add_f64 v[84:85], v[48:49], -v[28:29]
	v_fma_f64 v[30:31], v[46:47], v[78:79], -v[4:5]
	s_clause 0x1
	global_load_dwordx4 v[4:7], v82, s[12:13] offset:880
	global_load_dwordx4 v[74:77], v82, s[12:13] offset:864
	v_mul_f64 v[138:139], v[84:85], s[30:31]
	s_waitcnt vmcnt(1)
	v_mul_f64 v[44:45], v[22:23], v[6:7]
	v_mul_f64 v[6:7], v[20:21], v[6:7]
	v_fma_f64 v[44:45], v[20:21], v[4:5], v[44:45]
	v_fma_f64 v[20:21], v[22:23], v[4:5], -v[6:7]
	s_clause 0x1
	global_load_dwordx4 v[4:7], v82, s[12:13] offset:1024
	global_load_dwordx4 v[78:81], v82, s[12:13] offset:1040
	s_mov_b32 s12, 0x1ea71119
	s_mov_b32 s13, 0x3fe22d96
	s_waitcnt vmcnt(1) lgkmcnt(1)
	v_mul_f64 v[22:23], v[42:43], v[6:7]
	v_mul_f64 v[6:7], v[40:41], v[6:7]
	v_fma_f64 v[22:23], v[40:41], v[4:5], v[22:23]
	v_fma_f64 v[40:41], v[42:43], v[4:5], -v[6:7]
	v_mul_f64 v[4:5], v[18:19], v[68:69]
	v_add_f64 v[88:89], v[44:45], -v[22:23]
	v_add_f64 v[86:87], v[20:21], -v[40:41]
	v_fma_f64 v[42:43], v[16:17], v[66:67], v[4:5]
	v_mul_f64 v[4:5], v[16:17], v[68:69]
	v_mul_f64 v[6:7], v[86:87], s[30:31]
	v_fma_f64 v[18:19], v[18:19], v[66:67], -v[4:5]
	v_mul_f64 v[4:5], v[2:3], v[72:73]
	v_fma_f64 v[16:17], v[0:1], v[70:71], v[4:5]
	v_mul_f64 v[0:1], v[0:1], v[72:73]
	s_waitcnt vmcnt(0) lgkmcnt(0)
	v_mul_f64 v[4:5], v[26:27], v[80:81]
	v_add_f64 v[68:69], v[42:43], -v[16:17]
	v_fma_f64 v[46:47], v[2:3], v[70:71], -v[0:1]
	v_mul_f64 v[0:1], v[14:15], v[76:77]
	v_mul_f64 v[2:3], v[12:13], v[76:77]
	v_fma_f64 v[66:67], v[24:25], v[78:79], v[4:5]
	v_mul_f64 v[4:5], v[24:25], v[80:81]
	v_add_f64 v[70:71], v[58:59], -v[36:37]
	v_add_f64 v[76:77], v[62:63], -v[32:33]
	v_mul_f64 v[90:91], v[68:69], s[30:31]
	v_add_f64 v[72:73], v[18:19], -v[46:47]
	v_fma_f64 v[0:1], v[12:13], v[74:75], v[0:1]
	v_fma_f64 v[2:3], v[14:15], v[74:75], -v[2:3]
	v_add_f64 v[74:75], v[64:65], -v[34:35]
	v_fma_f64 v[24:25], v[26:27], v[78:79], -v[4:5]
	v_add_f64 v[26:27], v[38:39], -v[60:61]
	v_add_f64 v[78:79], v[50:51], -v[30:31]
	v_mul_f64 v[4:5], v[88:89], s[30:31]
	v_mul_f64 v[12:13], v[70:71], s[30:31]
	;; [unrolled: 1-line block ×5, first 2 shown]
	v_add_f64 v[80:81], v[0:1], -v[66:67]
	v_add_f64 v[130:131], v[0:1], v[66:67]
	v_mul_f64 v[94:95], v[74:75], s[30:31]
	v_add_f64 v[106:107], v[2:3], v[24:25]
	v_mul_f64 v[14:15], v[26:27], s[30:31]
	v_mul_f64 v[134:135], v[78:79], s[30:31]
	s_mov_b32 s31, 0xbfddbe06
	v_mul_f64 v[178:179], v[72:73], s[26:27]
	v_mul_f64 v[82:83], v[80:81], s[16:17]
	;; [unrolled: 1-line block ×7, first 2 shown]
	v_fma_f64 v[108:109], v[106:107], s[6:7], v[82:83]
	v_fma_f64 v[110:111], v[106:107], s[6:7], -v[82:83]
	v_fma_f64 v[112:113], v[106:107], s[4:5], v[98:99]
	v_fma_f64 v[98:99], v[106:107], s[4:5], -v[98:99]
	;; [unrolled: 2-line block ×6, first 2 shown]
	v_add_f64 v[80:81], v[2:3], -v[24:25]
	v_add_f64 v[164:165], v[10:11], v[110:111]
	v_add_f64 v[168:169], v[10:11], v[112:113]
	;; [unrolled: 1-line block ×7, first 2 shown]
	v_mul_f64 v[82:83], v[80:81], s[16:17]
	v_mul_f64 v[122:123], v[80:81], s[14:15]
	;; [unrolled: 1-line block ×6, first 2 shown]
	v_add_f64 v[106:107], v[50:51], v[30:31]
	s_mov_b32 s31, 0x3fcea1e5
	s_mov_b32 s30, s16
	v_fma_f64 v[132:133], v[130:131], s[6:7], -v[82:83]
	v_fma_f64 v[136:137], v[130:131], s[6:7], v[82:83]
	v_fma_f64 v[140:141], v[130:131], s[4:5], -v[122:123]
	v_fma_f64 v[122:123], v[130:131], s[4:5], v[122:123]
	;; [unrolled: 2-line block ×6, first 2 shown]
	v_add_f64 v[80:81], v[10:11], v[2:3]
	v_add_f64 v[82:83], v[8:9], v[0:1]
	;; [unrolled: 1-line block ×22, first 2 shown]
	v_mul_f64 v[154:155], v[76:77], s[28:29]
	v_mul_f64 v[156:157], v[74:75], s[28:29]
	;; [unrolled: 1-line block ×4, first 2 shown]
	v_add_f64 v[120:121], v[42:43], v[16:17]
	v_add_f64 v[20:21], v[20:21], v[80:81]
	;; [unrolled: 1-line block ×3, first 2 shown]
	v_fma_f64 v[8:9], v[102:103], s[24:25], v[4:5]
	v_fma_f64 v[4:5], v[102:103], s[24:25], -v[4:5]
	v_add_f64 v[20:21], v[50:51], v[20:21]
	v_add_f64 v[44:45], v[48:49], v[44:45]
	;; [unrolled: 1-line block ×3, first 2 shown]
	v_fma_f64 v[8:9], v[104:105], s[24:25], -v[6:7]
	v_add_f64 v[4:5], v[4:5], v[164:165]
	v_fma_f64 v[6:7], v[104:105], s[24:25], v[6:7]
	v_add_f64 v[20:21], v[64:65], v[20:21]
	v_add_f64 v[44:45], v[62:63], v[44:45]
	;; [unrolled: 1-line block ×3, first 2 shown]
	v_mul_f64 v[8:9], v[84:85], s[14:15]
	v_add_f64 v[6:7], v[6:7], v[166:167]
	v_add_f64 v[20:21], v[38:39], v[20:21]
	v_fma_f64 v[10:11], v[106:107], s[4:5], v[8:9]
	v_fma_f64 v[8:9], v[106:107], s[4:5], -v[8:9]
	v_add_f64 v[0:1], v[10:11], v[0:1]
	v_mul_f64 v[10:11], v[78:79], s[14:15]
	v_add_f64 v[4:5], v[8:9], v[4:5]
	v_fma_f64 v[110:111], v[108:109], s[4:5], -v[10:11]
	v_fma_f64 v[8:9], v[108:109], s[4:5], v[10:11]
	v_fma_f64 v[10:11], v[120:121], s[8:9], v[178:179]
	v_add_f64 v[2:3], v[110:111], v[2:3]
	v_add_f64 v[110:111], v[64:65], v[34:35]
	;; [unrolled: 1-line block ×3, first 2 shown]
	v_fma_f64 v[112:113], v[110:111], s[12:13], v[154:155]
	v_fma_f64 v[8:9], v[110:111], s[12:13], -v[154:155]
	v_mul_f64 v[154:155], v[88:89], s[26:27]
	v_add_f64 v[0:1], v[112:113], v[0:1]
	v_add_f64 v[112:113], v[62:63], v[32:33]
	;; [unrolled: 1-line block ×3, first 2 shown]
	v_fma_f64 v[114:115], v[112:113], s[12:13], -v[156:157]
	v_fma_f64 v[8:9], v[112:113], s[12:13], v[156:157]
	v_mul_f64 v[156:157], v[86:87], s[26:27]
	v_add_f64 v[2:3], v[114:115], v[2:3]
	v_add_f64 v[114:115], v[38:39], v[60:61]
	v_add_f64 v[6:7], v[8:9], v[6:7]
	v_add_f64 v[38:39], v[58:59], v[44:45]
	v_fma_f64 v[116:117], v[114:115], s[0:1], v[158:159]
	v_fma_f64 v[8:9], v[114:115], s[0:1], -v[158:159]
	v_mul_f64 v[158:159], v[84:85], s[22:23]
	v_add_f64 v[0:1], v[116:117], v[0:1]
	v_add_f64 v[116:117], v[58:59], v[36:37]
	;; [unrolled: 1-line block ×3, first 2 shown]
	v_fma_f64 v[118:119], v[116:117], s[0:1], -v[160:161]
	v_fma_f64 v[8:9], v[116:117], s[0:1], v[160:161]
	v_fma_f64 v[160:161], v[106:107], s[12:13], v[158:159]
	v_fma_f64 v[158:159], v[106:107], s[12:13], -v[158:159]
	v_add_f64 v[162:163], v[118:119], v[2:3]
	v_add_f64 v[118:119], v[18:19], v[46:47]
	;; [unrolled: 1-line block ×5, first 2 shown]
	v_fma_f64 v[6:7], v[118:119], s[8:9], -v[176:177]
	v_fma_f64 v[2:3], v[118:119], s[8:9], v[176:177]
	v_add_f64 v[18:19], v[46:47], v[18:19]
	v_add_f64 v[16:17], v[16:17], v[20:21]
	;; [unrolled: 1-line block ×4, first 2 shown]
	v_fma_f64 v[8:9], v[102:103], s[8:9], v[154:155]
	v_add_f64 v[2:3], v[2:3], v[0:1]
	v_fma_f64 v[0:1], v[120:121], s[8:9], -v[178:179]
	v_fma_f64 v[10:11], v[104:105], s[8:9], -v[156:157]
	;; [unrolled: 1-line block ×3, first 2 shown]
	v_fma_f64 v[156:157], v[104:105], s[8:9], v[156:157]
	v_add_f64 v[18:19], v[60:61], v[18:19]
	v_add_f64 v[16:17], v[36:37], v[16:17]
	v_add_f64 v[8:9], v[8:9], v[168:169]
	v_mul_f64 v[168:169], v[68:69], s[18:19]
	v_add_f64 v[0:1], v[0:1], v[162:163]
	v_add_f64 v[10:11], v[10:11], v[170:171]
	;; [unrolled: 1-line block ×4, first 2 shown]
	v_mul_f64 v[170:171], v[72:73], s[18:19]
	v_add_f64 v[18:19], v[34:35], v[18:19]
	v_add_f64 v[16:17], v[32:33], v[16:17]
	;; [unrolled: 1-line block ×3, first 2 shown]
	v_mul_f64 v[160:161], v[78:79], s[22:23]
	v_add_f64 v[154:155], v[158:159], v[154:155]
	v_add_f64 v[18:19], v[30:31], v[18:19]
	v_add_f64 v[16:17], v[28:29], v[16:17]
	v_fma_f64 v[162:163], v[108:109], s[12:13], -v[160:161]
	v_fma_f64 v[158:159], v[108:109], s[12:13], v[160:161]
	v_add_f64 v[18:19], v[40:41], v[18:19]
	v_add_f64 v[16:17], v[22:23], v[16:17]
	;; [unrolled: 1-line block ×3, first 2 shown]
	v_mul_f64 v[162:163], v[76:77], s[30:31]
	v_add_f64 v[156:157], v[158:159], v[156:157]
	v_add_f64 v[18:19], v[24:25], v[18:19]
	;; [unrolled: 1-line block ×3, first 2 shown]
	v_fma_f64 v[164:165], v[110:111], s[6:7], v[162:163]
	v_fma_f64 v[158:159], v[110:111], s[6:7], -v[162:163]
	v_add_f64 v[8:9], v[164:165], v[8:9]
	v_mul_f64 v[164:165], v[74:75], s[30:31]
	v_add_f64 v[154:155], v[158:159], v[154:155]
	v_fma_f64 v[166:167], v[112:113], s[6:7], -v[164:165]
	v_fma_f64 v[158:159], v[112:113], s[6:7], v[164:165]
	v_add_f64 v[10:11], v[166:167], v[10:11]
	v_fma_f64 v[166:167], v[114:115], s[24:25], v[12:13]
	v_add_f64 v[156:157], v[158:159], v[156:157]
	v_fma_f64 v[12:13], v[114:115], s[24:25], -v[12:13]
	v_add_f64 v[8:9], v[166:167], v[8:9]
	v_fma_f64 v[166:167], v[116:117], s[24:25], -v[14:15]
	v_fma_f64 v[14:15], v[116:117], s[24:25], v[14:15]
	v_add_f64 v[12:13], v[12:13], v[154:155]
	v_add_f64 v[166:167], v[166:167], v[10:11]
	;; [unrolled: 1-line block ×3, first 2 shown]
	v_fma_f64 v[14:15], v[118:119], s[0:1], -v[168:169]
	v_fma_f64 v[156:157], v[120:121], s[0:1], v[170:171]
	v_fma_f64 v[10:11], v[118:119], s[0:1], v[168:169]
	v_add_f64 v[14:15], v[14:15], v[12:13]
	v_add_f64 v[12:13], v[156:157], v[154:155]
	v_mul_f64 v[154:155], v[88:89], s[34:35]
	v_add_f64 v[10:11], v[10:11], v[8:9]
	v_fma_f64 v[8:9], v[120:121], s[0:1], -v[170:171]
	v_fma_f64 v[156:157], v[102:103], s[4:5], v[154:155]
	v_fma_f64 v[154:155], v[102:103], s[4:5], -v[154:155]
	v_add_f64 v[8:9], v[8:9], v[166:167]
	v_add_f64 v[152:153], v[156:157], v[152:153]
	v_mul_f64 v[156:157], v[86:87], s[34:35]
	v_add_f64 v[148:149], v[154:155], v[148:149]
	v_fma_f64 v[158:159], v[104:105], s[4:5], -v[156:157]
	v_fma_f64 v[154:155], v[104:105], s[4:5], v[156:157]
	v_add_f64 v[150:151], v[158:159], v[150:151]
	v_fma_f64 v[158:159], v[106:107], s[24:25], v[138:139]
	v_add_f64 v[146:147], v[154:155], v[146:147]
	v_fma_f64 v[138:139], v[106:107], s[24:25], -v[138:139]
	v_add_f64 v[152:153], v[158:159], v[152:153]
	v_fma_f64 v[158:159], v[108:109], s[24:25], -v[134:135]
	v_fma_f64 v[134:135], v[108:109], s[24:25], v[134:135]
	v_add_f64 v[138:139], v[138:139], v[148:149]
	v_add_f64 v[150:151], v[158:159], v[150:151]
	v_mul_f64 v[158:159], v[76:77], s[20:21]
	v_add_f64 v[134:135], v[134:135], v[146:147]
	v_fma_f64 v[160:161], v[110:111], s[8:9], v[158:159]
	v_fma_f64 v[146:147], v[110:111], s[8:9], -v[158:159]
	v_add_f64 v[152:153], v[160:161], v[152:153]
	v_mul_f64 v[160:161], v[74:75], s[20:21]
	v_add_f64 v[138:139], v[146:147], v[138:139]
	v_fma_f64 v[162:163], v[112:113], s[8:9], -v[160:161]
	v_fma_f64 v[146:147], v[112:113], s[8:9], v[160:161]
	v_mul_f64 v[160:161], v[70:71], s[22:23]
	v_add_f64 v[150:151], v[162:163], v[150:151]
	v_mul_f64 v[162:163], v[70:71], s[30:31]
	v_add_f64 v[134:135], v[146:147], v[134:135]
	v_fma_f64 v[164:165], v[114:115], s[6:7], v[162:163]
	v_fma_f64 v[146:147], v[114:115], s[6:7], -v[162:163]
	v_mul_f64 v[162:163], v[26:27], s[22:23]
	v_add_f64 v[152:153], v[164:165], v[152:153]
	v_mul_f64 v[164:165], v[26:27], s[30:31]
	v_add_f64 v[138:139], v[146:147], v[138:139]
	v_fma_f64 v[166:167], v[116:117], s[6:7], -v[164:165]
	v_fma_f64 v[146:147], v[116:117], s[6:7], v[164:165]
	v_mul_f64 v[164:165], v[68:69], s[14:15]
	v_add_f64 v[150:151], v[166:167], v[150:151]
	v_mul_f64 v[166:167], v[68:69], s[28:29]
	v_add_f64 v[134:135], v[146:147], v[134:135]
	v_fma_f64 v[168:169], v[118:119], s[12:13], v[166:167]
	v_fma_f64 v[146:147], v[118:119], s[12:13], -v[166:167]
	v_mul_f64 v[166:167], v[72:73], s[14:15]
	v_add_f64 v[152:153], v[168:169], v[152:153]
	v_mul_f64 v[168:169], v[72:73], s[28:29]
	v_add_f64 v[148:149], v[146:147], v[138:139]
	v_mul_f64 v[138:139], v[88:89], s[16:17]
	s_mov_b32 s29, 0x3fedeba7
	s_mov_b32 s28, s18
	v_mul_f64 v[72:73], v[72:73], s[16:17]
	v_mul_f64 v[156:157], v[84:85], s[28:29]
	;; [unrolled: 1-line block ×3, first 2 shown]
	v_fma_f64 v[154:155], v[120:121], s[12:13], v[168:169]
	v_fma_f64 v[170:171], v[120:121], s[12:13], -v[168:169]
	v_mul_f64 v[168:169], v[88:89], s[18:19]
	v_mul_f64 v[88:89], v[88:89], s[22:23]
	v_add_f64 v[146:147], v[154:155], v[134:135]
	v_fma_f64 v[134:135], v[102:103], s[6:7], v[138:139]
	v_mul_f64 v[154:155], v[86:87], s[16:17]
	v_fma_f64 v[138:139], v[102:103], s[6:7], -v[138:139]
	v_add_f64 v[150:151], v[170:171], v[150:151]
	v_add_f64 v[134:135], v[134:135], v[144:145]
	v_fma_f64 v[144:145], v[104:105], s[6:7], -v[154:155]
	v_add_f64 v[132:133], v[138:139], v[132:133]
	v_fma_f64 v[138:139], v[104:105], s[6:7], v[154:155]
	v_add_f64 v[142:143], v[144:145], v[142:143]
	v_fma_f64 v[144:145], v[106:107], s[0:1], v[156:157]
	v_add_f64 v[130:131], v[138:139], v[130:131]
	v_fma_f64 v[138:139], v[106:107], s[0:1], -v[156:157]
	v_add_f64 v[134:135], v[144:145], v[134:135]
	v_fma_f64 v[144:145], v[108:109], s[0:1], -v[158:159]
	v_add_f64 v[132:133], v[138:139], v[132:133]
	v_fma_f64 v[138:139], v[108:109], s[0:1], v[158:159]
	v_add_f64 v[142:143], v[144:145], v[142:143]
	v_fma_f64 v[144:145], v[110:111], s[24:25], v[96:97]
	v_add_f64 v[130:131], v[138:139], v[130:131]
	v_fma_f64 v[96:97], v[110:111], s[24:25], -v[96:97]
	v_add_f64 v[134:135], v[144:145], v[134:135]
	v_fma_f64 v[144:145], v[112:113], s[24:25], -v[94:95]
	v_fma_f64 v[94:95], v[112:113], s[24:25], v[94:95]
	v_add_f64 v[96:97], v[96:97], v[132:133]
	v_fma_f64 v[132:133], v[120:121], s[4:5], v[166:167]
	v_add_f64 v[142:143], v[144:145], v[142:143]
	v_fma_f64 v[144:145], v[114:115], s[12:13], v[160:161]
	v_add_f64 v[94:95], v[94:95], v[130:131]
	v_fma_f64 v[130:131], v[114:115], s[12:13], -v[160:161]
	v_add_f64 v[134:135], v[144:145], v[134:135]
	v_fma_f64 v[144:145], v[116:117], s[12:13], -v[162:163]
	v_add_f64 v[96:97], v[130:131], v[96:97]
	v_fma_f64 v[130:131], v[116:117], s[12:13], v[162:163]
	v_add_f64 v[142:143], v[144:145], v[142:143]
	v_fma_f64 v[144:145], v[118:119], s[4:5], v[164:165]
	v_add_f64 v[94:95], v[130:131], v[94:95]
	v_fma_f64 v[130:131], v[118:119], s[4:5], -v[164:165]
	v_add_f64 v[144:145], v[144:145], v[134:135]
	v_fma_f64 v[134:135], v[120:121], s[4:5], -v[166:167]
	v_add_f64 v[96:97], v[130:131], v[96:97]
	v_fma_f64 v[130:131], v[102:103], s[0:1], v[168:169]
	v_add_f64 v[94:95], v[132:133], v[94:95]
	v_add_f64 v[142:143], v[134:135], v[142:143]
	v_fma_f64 v[134:135], v[102:103], s[0:1], -v[168:169]
	v_add_f64 v[128:129], v[130:131], v[128:129]
	v_add_f64 v[134:135], v[134:135], v[140:141]
	v_mul_f64 v[140:141], v[86:87], s[18:19]
	v_mul_f64 v[86:87], v[86:87], s[22:23]
	v_fma_f64 v[170:171], v[104:105], s[0:1], v[140:141]
	v_fma_f64 v[130:131], v[104:105], s[0:1], -v[140:141]
	v_add_f64 v[136:137], v[170:171], v[136:137]
	v_mul_f64 v[170:171], v[84:85], s[16:17]
	v_add_f64 v[126:127], v[130:131], v[126:127]
	v_mul_f64 v[84:85], v[84:85], s[20:21]
	v_fma_f64 v[172:173], v[106:107], s[6:7], -v[170:171]
	v_fma_f64 v[130:131], v[106:107], s[6:7], v[170:171]
	v_add_f64 v[134:135], v[172:173], v[134:135]
	v_mul_f64 v[172:173], v[78:79], s[16:17]
	v_add_f64 v[128:129], v[130:131], v[128:129]
	v_mul_f64 v[78:79], v[78:79], s[20:21]
	v_fma_f64 v[174:175], v[108:109], s[6:7], v[172:173]
	v_fma_f64 v[130:131], v[108:109], s[6:7], -v[172:173]
	v_add_f64 v[136:137], v[174:175], v[136:137]
	v_mul_f64 v[174:175], v[76:77], s[34:35]
	v_add_f64 v[126:127], v[130:131], v[126:127]
	v_mul_f64 v[76:77], v[76:77], s[18:19]
	v_fma_f64 v[176:177], v[110:111], s[4:5], -v[174:175]
	v_fma_f64 v[130:131], v[110:111], s[4:5], v[174:175]
	v_add_f64 v[134:135], v[176:177], v[134:135]
	v_mul_f64 v[176:177], v[74:75], s[34:35]
	v_add_f64 v[128:129], v[130:131], v[128:129]
	v_mul_f64 v[74:75], v[74:75], s[18:19]
	v_fma_f64 v[178:179], v[112:113], s[4:5], v[176:177]
	v_fma_f64 v[130:131], v[112:113], s[4:5], -v[176:177]
	v_add_f64 v[136:137], v[178:179], v[136:137]
	v_mul_f64 v[178:179], v[70:71], s[26:27]
	v_add_f64 v[126:127], v[130:131], v[126:127]
	v_fma_f64 v[180:181], v[114:115], s[8:9], -v[178:179]
	v_fma_f64 v[130:131], v[114:115], s[8:9], v[178:179]
	v_add_f64 v[134:135], v[180:181], v[134:135]
	v_mul_f64 v[180:181], v[26:27], s[26:27]
	v_add_f64 v[128:129], v[130:131], v[128:129]
	v_mul_f64 v[26:27], v[26:27], s[14:15]
	v_fma_f64 v[182:183], v[116:117], s[8:9], v[180:181]
	v_fma_f64 v[130:131], v[116:117], s[8:9], -v[180:181]
	v_add_f64 v[182:183], v[182:183], v[136:137]
	v_fma_f64 v[136:137], v[118:119], s[24:25], -v[90:91]
	v_add_f64 v[126:127], v[130:131], v[126:127]
	v_fma_f64 v[90:91], v[118:119], s[24:25], v[90:91]
	v_fma_f64 v[130:131], v[120:121], s[24:25], -v[92:93]
	v_add_f64 v[136:137], v[136:137], v[134:135]
	v_fma_f64 v[134:135], v[120:121], s[24:25], v[92:93]
	v_add_f64 v[92:93], v[90:91], v[128:129]
	v_add_f64 v[90:91], v[130:131], v[126:127]
	v_fma_f64 v[126:127], v[102:103], s[12:13], v[88:89]
	v_fma_f64 v[88:89], v[102:103], s[12:13], -v[88:89]
	v_add_f64 v[134:135], v[134:135], v[182:183]
	v_add_f64 v[124:125], v[126:127], v[124:125]
	v_fma_f64 v[126:127], v[104:105], s[12:13], -v[86:87]
	v_fma_f64 v[86:87], v[104:105], s[12:13], v[86:87]
	v_add_f64 v[88:89], v[88:89], v[98:99]
	v_add_f64 v[122:123], v[126:127], v[122:123]
	v_fma_f64 v[126:127], v[106:107], s[8:9], v[84:85]
	v_add_f64 v[86:87], v[86:87], v[100:101]
	v_fma_f64 v[84:85], v[106:107], s[8:9], -v[84:85]
	v_add_f64 v[124:125], v[126:127], v[124:125]
	v_fma_f64 v[126:127], v[108:109], s[8:9], -v[78:79]
	v_fma_f64 v[78:79], v[108:109], s[8:9], v[78:79]
	v_add_f64 v[84:85], v[84:85], v[88:89]
	v_add_f64 v[122:123], v[126:127], v[122:123]
	v_fma_f64 v[126:127], v[110:111], s[0:1], v[76:77]
	v_add_f64 v[78:79], v[78:79], v[86:87]
	v_fma_f64 v[76:77], v[110:111], s[0:1], -v[76:77]
	v_add_f64 v[124:125], v[126:127], v[124:125]
	v_fma_f64 v[126:127], v[112:113], s[0:1], -v[74:75]
	v_fma_f64 v[74:75], v[112:113], s[0:1], v[74:75]
	v_add_f64 v[76:77], v[76:77], v[84:85]
	v_add_f64 v[122:123], v[126:127], v[122:123]
	v_mul_f64 v[126:127], v[70:71], s[14:15]
	v_add_f64 v[74:75], v[74:75], v[78:79]
	v_fma_f64 v[70:71], v[114:115], s[4:5], v[126:127]
	v_fma_f64 v[86:87], v[114:115], s[4:5], -v[126:127]
	v_add_f64 v[70:71], v[70:71], v[124:125]
	v_fma_f64 v[124:125], v[116:117], s[4:5], -v[26:27]
	v_fma_f64 v[26:27], v[116:117], s[4:5], v[26:27]
	v_add_f64 v[76:77], v[86:87], v[76:77]
	v_add_f64 v[122:123], v[124:125], v[122:123]
	v_mul_f64 v[124:125], v[68:69], s[16:17]
	v_add_f64 v[26:27], v[26:27], v[74:75]
	v_fma_f64 v[68:69], v[118:119], s[6:7], v[124:125]
	v_fma_f64 v[78:79], v[118:119], s[6:7], -v[124:125]
	v_add_f64 v[70:71], v[68:69], v[70:71]
	v_fma_f64 v[68:69], v[120:121], s[6:7], -v[72:73]
	v_fma_f64 v[72:73], v[120:121], s[6:7], v[72:73]
	v_add_f64 v[74:75], v[78:79], v[76:77]
	v_add_f64 v[68:69], v[68:69], v[122:123]
	;; [unrolled: 1-line block ×3, first 2 shown]
	v_mad_u64_u32 v[26:27], null, s2, v54, 0
	v_add3_u32 v27, v27, v55, v57
	v_mov_b32_e32 v57, 0
	v_lshlrev_b64 v[26:27], 4, v[26:27]
	v_add_co_u32 v54, vcc_lo, s10, v26
	v_add_co_ci_u32_e32 v55, vcc_lo, s11, v27, vcc_lo
	v_lshlrev_b64 v[26:27], 4, v[52:53]
	v_add_co_u32 v52, vcc_lo, v54, v26
	v_add_co_ci_u32_e32 v53, vcc_lo, v55, v27, vcc_lo
	;; [unrolled: 3-line block ×3, first 2 shown]
	v_add_co_u32 v20, vcc_lo, 0x800, v26
	v_add_co_ci_u32_e32 v21, vcc_lo, 0, v27, vcc_lo
	v_add_co_u32 v22, vcc_lo, 0x1000, v26
	v_add_co_ci_u32_e32 v23, vcc_lo, 0, v27, vcc_lo
	;; [unrolled: 2-line block ×4, first 2 shown]
	v_add_co_u32 v30, vcc_lo, 0x2800, v26
	global_store_dwordx4 v[26:27], v[134:137], off offset:2016
	v_add_co_ci_u32_e32 v31, vcc_lo, 0, v27, vcc_lo
	global_store_dwordx4 v[20:21], v[94:97], off offset:976
	global_store_dwordx4 v[20:21], v[146:149], off offset:1984
	;; [unrolled: 1-line block ×10, first 2 shown]
	global_store_dwordx4 v[26:27], v[16:19], off
	global_store_dwordx4 v[30:31], v[68:71], off offset:1856
	s_endpgm
	.section	.rodata,"a",@progbits
	.p2align	6, 0x0
	.amdhsa_kernel fft_rtc_back_len819_factors_9_7_13_wgs_117_tpt_117_dp_op_CI_CI_unitstride_sbrr_dirReg
		.amdhsa_group_segment_fixed_size 0
		.amdhsa_private_segment_fixed_size 0
		.amdhsa_kernarg_size 104
		.amdhsa_user_sgpr_count 6
		.amdhsa_user_sgpr_private_segment_buffer 1
		.amdhsa_user_sgpr_dispatch_ptr 0
		.amdhsa_user_sgpr_queue_ptr 0
		.amdhsa_user_sgpr_kernarg_segment_ptr 1
		.amdhsa_user_sgpr_dispatch_id 0
		.amdhsa_user_sgpr_flat_scratch_init 0
		.amdhsa_user_sgpr_private_segment_size 0
		.amdhsa_wavefront_size32 1
		.amdhsa_uses_dynamic_stack 0
		.amdhsa_system_sgpr_private_segment_wavefront_offset 0
		.amdhsa_system_sgpr_workgroup_id_x 1
		.amdhsa_system_sgpr_workgroup_id_y 0
		.amdhsa_system_sgpr_workgroup_id_z 0
		.amdhsa_system_sgpr_workgroup_info 0
		.amdhsa_system_vgpr_workitem_id 0
		.amdhsa_next_free_vgpr 184
		.amdhsa_next_free_sgpr 36
		.amdhsa_reserve_vcc 1
		.amdhsa_reserve_flat_scratch 0
		.amdhsa_float_round_mode_32 0
		.amdhsa_float_round_mode_16_64 0
		.amdhsa_float_denorm_mode_32 3
		.amdhsa_float_denorm_mode_16_64 3
		.amdhsa_dx10_clamp 1
		.amdhsa_ieee_mode 1
		.amdhsa_fp16_overflow 0
		.amdhsa_workgroup_processor_mode 1
		.amdhsa_memory_ordered 1
		.amdhsa_forward_progress 0
		.amdhsa_shared_vgpr_count 0
		.amdhsa_exception_fp_ieee_invalid_op 0
		.amdhsa_exception_fp_denorm_src 0
		.amdhsa_exception_fp_ieee_div_zero 0
		.amdhsa_exception_fp_ieee_overflow 0
		.amdhsa_exception_fp_ieee_underflow 0
		.amdhsa_exception_fp_ieee_inexact 0
		.amdhsa_exception_int_div_zero 0
	.end_amdhsa_kernel
	.text
.Lfunc_end0:
	.size	fft_rtc_back_len819_factors_9_7_13_wgs_117_tpt_117_dp_op_CI_CI_unitstride_sbrr_dirReg, .Lfunc_end0-fft_rtc_back_len819_factors_9_7_13_wgs_117_tpt_117_dp_op_CI_CI_unitstride_sbrr_dirReg
                                        ; -- End function
	.section	.AMDGPU.csdata,"",@progbits
; Kernel info:
; codeLenInByte = 8408
; NumSgprs: 38
; NumVgprs: 184
; ScratchSize: 0
; MemoryBound: 1
; FloatMode: 240
; IeeeMode: 1
; LDSByteSize: 0 bytes/workgroup (compile time only)
; SGPRBlocks: 4
; VGPRBlocks: 22
; NumSGPRsForWavesPerEU: 38
; NumVGPRsForWavesPerEU: 184
; Occupancy: 5
; WaveLimiterHint : 1
; COMPUTE_PGM_RSRC2:SCRATCH_EN: 0
; COMPUTE_PGM_RSRC2:USER_SGPR: 6
; COMPUTE_PGM_RSRC2:TRAP_HANDLER: 0
; COMPUTE_PGM_RSRC2:TGID_X_EN: 1
; COMPUTE_PGM_RSRC2:TGID_Y_EN: 0
; COMPUTE_PGM_RSRC2:TGID_Z_EN: 0
; COMPUTE_PGM_RSRC2:TIDIG_COMP_CNT: 0
	.text
	.p2alignl 6, 3214868480
	.fill 48, 4, 3214868480
	.type	__hip_cuid_a819f2a86ab9add0,@object ; @__hip_cuid_a819f2a86ab9add0
	.section	.bss,"aw",@nobits
	.globl	__hip_cuid_a819f2a86ab9add0
__hip_cuid_a819f2a86ab9add0:
	.byte	0                               ; 0x0
	.size	__hip_cuid_a819f2a86ab9add0, 1

	.ident	"AMD clang version 19.0.0git (https://github.com/RadeonOpenCompute/llvm-project roc-6.4.0 25133 c7fe45cf4b819c5991fe208aaa96edf142730f1d)"
	.section	".note.GNU-stack","",@progbits
	.addrsig
	.addrsig_sym __hip_cuid_a819f2a86ab9add0
	.amdgpu_metadata
---
amdhsa.kernels:
  - .args:
      - .actual_access:  read_only
        .address_space:  global
        .offset:         0
        .size:           8
        .value_kind:     global_buffer
      - .offset:         8
        .size:           8
        .value_kind:     by_value
      - .actual_access:  read_only
        .address_space:  global
        .offset:         16
        .size:           8
        .value_kind:     global_buffer
      - .actual_access:  read_only
        .address_space:  global
        .offset:         24
        .size:           8
        .value_kind:     global_buffer
      - .actual_access:  read_only
        .address_space:  global
        .offset:         32
        .size:           8
        .value_kind:     global_buffer
      - .offset:         40
        .size:           8
        .value_kind:     by_value
      - .actual_access:  read_only
        .address_space:  global
        .offset:         48
        .size:           8
        .value_kind:     global_buffer
      - .actual_access:  read_only
        .address_space:  global
        .offset:         56
        .size:           8
        .value_kind:     global_buffer
      - .offset:         64
        .size:           4
        .value_kind:     by_value
      - .actual_access:  read_only
        .address_space:  global
        .offset:         72
        .size:           8
        .value_kind:     global_buffer
      - .actual_access:  read_only
        .address_space:  global
        .offset:         80
        .size:           8
        .value_kind:     global_buffer
      - .actual_access:  read_only
        .address_space:  global
        .offset:         88
        .size:           8
        .value_kind:     global_buffer
      - .actual_access:  write_only
        .address_space:  global
        .offset:         96
        .size:           8
        .value_kind:     global_buffer
    .group_segment_fixed_size: 0
    .kernarg_segment_align: 8
    .kernarg_segment_size: 104
    .language:       OpenCL C
    .language_version:
      - 2
      - 0
    .max_flat_workgroup_size: 117
    .name:           fft_rtc_back_len819_factors_9_7_13_wgs_117_tpt_117_dp_op_CI_CI_unitstride_sbrr_dirReg
    .private_segment_fixed_size: 0
    .sgpr_count:     38
    .sgpr_spill_count: 0
    .symbol:         fft_rtc_back_len819_factors_9_7_13_wgs_117_tpt_117_dp_op_CI_CI_unitstride_sbrr_dirReg.kd
    .uniform_work_group_size: 1
    .uses_dynamic_stack: false
    .vgpr_count:     184
    .vgpr_spill_count: 0
    .wavefront_size: 32
    .workgroup_processor_mode: 1
amdhsa.target:   amdgcn-amd-amdhsa--gfx1030
amdhsa.version:
  - 1
  - 2
...

	.end_amdgpu_metadata
